;; amdgpu-corpus repo=ROCm/rocFFT kind=compiled arch=gfx906 opt=O3
	.text
	.amdgcn_target "amdgcn-amd-amdhsa--gfx906"
	.amdhsa_code_object_version 6
	.protected	fft_rtc_back_len660_factors_11_6_10_wgs_110_tpt_110_halfLds_sp_ip_CI_unitstride_sbrr_R2C_dirReg ; -- Begin function fft_rtc_back_len660_factors_11_6_10_wgs_110_tpt_110_halfLds_sp_ip_CI_unitstride_sbrr_R2C_dirReg
	.globl	fft_rtc_back_len660_factors_11_6_10_wgs_110_tpt_110_halfLds_sp_ip_CI_unitstride_sbrr_R2C_dirReg
	.p2align	8
	.type	fft_rtc_back_len660_factors_11_6_10_wgs_110_tpt_110_halfLds_sp_ip_CI_unitstride_sbrr_R2C_dirReg,@function
fft_rtc_back_len660_factors_11_6_10_wgs_110_tpt_110_halfLds_sp_ip_CI_unitstride_sbrr_R2C_dirReg: ; @fft_rtc_back_len660_factors_11_6_10_wgs_110_tpt_110_halfLds_sp_ip_CI_unitstride_sbrr_R2C_dirReg
; %bb.0:
	s_load_dwordx2 s[2:3], s[4:5], 0x50
	s_load_dwordx4 s[8:11], s[4:5], 0x0
	s_load_dwordx2 s[12:13], s[4:5], 0x18
	v_mul_u32_u24_e32 v1, 0x254, v0
	v_add_u32_sdwa v5, s6, v1 dst_sel:DWORD dst_unused:UNUSED_PAD src0_sel:DWORD src1_sel:WORD_1
	v_mov_b32_e32 v3, 0
	s_waitcnt lgkmcnt(0)
	v_cmp_lt_u64_e64 s[0:1], s[10:11], 2
	v_mov_b32_e32 v1, 0
	v_mov_b32_e32 v6, v3
	s_and_b64 vcc, exec, s[0:1]
	v_mov_b32_e32 v2, 0
	s_cbranch_vccnz .LBB0_8
; %bb.1:
	s_load_dwordx2 s[0:1], s[4:5], 0x10
	s_add_u32 s6, s12, 8
	s_addc_u32 s7, s13, 0
	v_mov_b32_e32 v1, 0
	v_mov_b32_e32 v2, 0
	s_waitcnt lgkmcnt(0)
	s_add_u32 s14, s0, 8
	s_addc_u32 s15, s1, 0
	s_mov_b64 s[16:17], 1
.LBB0_2:                                ; =>This Inner Loop Header: Depth=1
	s_load_dwordx2 s[18:19], s[14:15], 0x0
                                        ; implicit-def: $vgpr7_vgpr8
	s_waitcnt lgkmcnt(0)
	v_or_b32_e32 v4, s19, v6
	v_cmp_ne_u64_e32 vcc, 0, v[3:4]
	s_and_saveexec_b64 s[0:1], vcc
	s_xor_b64 s[20:21], exec, s[0:1]
	s_cbranch_execz .LBB0_4
; %bb.3:                                ;   in Loop: Header=BB0_2 Depth=1
	v_cvt_f32_u32_e32 v4, s18
	v_cvt_f32_u32_e32 v7, s19
	s_sub_u32 s0, 0, s18
	s_subb_u32 s1, 0, s19
	v_mac_f32_e32 v4, 0x4f800000, v7
	v_rcp_f32_e32 v4, v4
	v_mul_f32_e32 v4, 0x5f7ffffc, v4
	v_mul_f32_e32 v7, 0x2f800000, v4
	v_trunc_f32_e32 v7, v7
	v_mac_f32_e32 v4, 0xcf800000, v7
	v_cvt_u32_f32_e32 v7, v7
	v_cvt_u32_f32_e32 v4, v4
	v_mul_lo_u32 v8, s0, v7
	v_mul_hi_u32 v9, s0, v4
	v_mul_lo_u32 v11, s1, v4
	v_mul_lo_u32 v10, s0, v4
	v_add_u32_e32 v8, v9, v8
	v_add_u32_e32 v8, v8, v11
	v_mul_hi_u32 v9, v4, v10
	v_mul_lo_u32 v11, v4, v8
	v_mul_hi_u32 v13, v4, v8
	v_mul_hi_u32 v12, v7, v10
	v_mul_lo_u32 v10, v7, v10
	v_mul_hi_u32 v14, v7, v8
	v_add_co_u32_e32 v9, vcc, v9, v11
	v_addc_co_u32_e32 v11, vcc, 0, v13, vcc
	v_mul_lo_u32 v8, v7, v8
	v_add_co_u32_e32 v9, vcc, v9, v10
	v_addc_co_u32_e32 v9, vcc, v11, v12, vcc
	v_addc_co_u32_e32 v10, vcc, 0, v14, vcc
	v_add_co_u32_e32 v8, vcc, v9, v8
	v_addc_co_u32_e32 v9, vcc, 0, v10, vcc
	v_add_co_u32_e32 v4, vcc, v4, v8
	v_addc_co_u32_e32 v7, vcc, v7, v9, vcc
	v_mul_lo_u32 v8, s0, v7
	v_mul_hi_u32 v9, s0, v4
	v_mul_lo_u32 v10, s1, v4
	v_mul_lo_u32 v11, s0, v4
	v_add_u32_e32 v8, v9, v8
	v_add_u32_e32 v8, v8, v10
	v_mul_lo_u32 v12, v4, v8
	v_mul_hi_u32 v13, v4, v11
	v_mul_hi_u32 v14, v4, v8
	;; [unrolled: 1-line block ×3, first 2 shown]
	v_mul_lo_u32 v11, v7, v11
	v_mul_hi_u32 v9, v7, v8
	v_add_co_u32_e32 v12, vcc, v13, v12
	v_addc_co_u32_e32 v13, vcc, 0, v14, vcc
	v_mul_lo_u32 v8, v7, v8
	v_add_co_u32_e32 v11, vcc, v12, v11
	v_addc_co_u32_e32 v10, vcc, v13, v10, vcc
	v_addc_co_u32_e32 v9, vcc, 0, v9, vcc
	v_add_co_u32_e32 v8, vcc, v10, v8
	v_addc_co_u32_e32 v9, vcc, 0, v9, vcc
	v_add_co_u32_e32 v4, vcc, v4, v8
	v_addc_co_u32_e32 v9, vcc, v7, v9, vcc
	v_mad_u64_u32 v[7:8], s[0:1], v5, v9, 0
	v_mul_hi_u32 v10, v5, v4
	v_add_co_u32_e32 v11, vcc, v10, v7
	v_addc_co_u32_e32 v12, vcc, 0, v8, vcc
	v_mad_u64_u32 v[7:8], s[0:1], v6, v4, 0
	v_mad_u64_u32 v[9:10], s[0:1], v6, v9, 0
	v_add_co_u32_e32 v4, vcc, v11, v7
	v_addc_co_u32_e32 v4, vcc, v12, v8, vcc
	v_addc_co_u32_e32 v7, vcc, 0, v10, vcc
	v_add_co_u32_e32 v4, vcc, v4, v9
	v_addc_co_u32_e32 v9, vcc, 0, v7, vcc
	v_mul_lo_u32 v10, s19, v4
	v_mul_lo_u32 v11, s18, v9
	v_mad_u64_u32 v[7:8], s[0:1], s18, v4, 0
	v_add3_u32 v8, v8, v11, v10
	v_sub_u32_e32 v10, v6, v8
	v_mov_b32_e32 v11, s19
	v_sub_co_u32_e32 v7, vcc, v5, v7
	v_subb_co_u32_e64 v10, s[0:1], v10, v11, vcc
	v_subrev_co_u32_e64 v11, s[0:1], s18, v7
	v_subbrev_co_u32_e64 v10, s[0:1], 0, v10, s[0:1]
	v_cmp_le_u32_e64 s[0:1], s19, v10
	v_cndmask_b32_e64 v12, 0, -1, s[0:1]
	v_cmp_le_u32_e64 s[0:1], s18, v11
	v_cndmask_b32_e64 v11, 0, -1, s[0:1]
	v_cmp_eq_u32_e64 s[0:1], s19, v10
	v_cndmask_b32_e64 v10, v12, v11, s[0:1]
	v_add_co_u32_e64 v11, s[0:1], 2, v4
	v_addc_co_u32_e64 v12, s[0:1], 0, v9, s[0:1]
	v_add_co_u32_e64 v13, s[0:1], 1, v4
	v_addc_co_u32_e64 v14, s[0:1], 0, v9, s[0:1]
	v_subb_co_u32_e32 v8, vcc, v6, v8, vcc
	v_cmp_ne_u32_e64 s[0:1], 0, v10
	v_cmp_le_u32_e32 vcc, s19, v8
	v_cndmask_b32_e64 v10, v14, v12, s[0:1]
	v_cndmask_b32_e64 v12, 0, -1, vcc
	v_cmp_le_u32_e32 vcc, s18, v7
	v_cndmask_b32_e64 v7, 0, -1, vcc
	v_cmp_eq_u32_e32 vcc, s19, v8
	v_cndmask_b32_e32 v7, v12, v7, vcc
	v_cmp_ne_u32_e32 vcc, 0, v7
	v_cndmask_b32_e64 v7, v13, v11, s[0:1]
	v_cndmask_b32_e32 v8, v9, v10, vcc
	v_cndmask_b32_e32 v7, v4, v7, vcc
.LBB0_4:                                ;   in Loop: Header=BB0_2 Depth=1
	s_andn2_saveexec_b64 s[0:1], s[20:21]
	s_cbranch_execz .LBB0_6
; %bb.5:                                ;   in Loop: Header=BB0_2 Depth=1
	v_cvt_f32_u32_e32 v4, s18
	s_sub_i32 s20, 0, s18
	v_rcp_iflag_f32_e32 v4, v4
	v_mul_f32_e32 v4, 0x4f7ffffe, v4
	v_cvt_u32_f32_e32 v4, v4
	v_mul_lo_u32 v7, s20, v4
	v_mul_hi_u32 v7, v4, v7
	v_add_u32_e32 v4, v4, v7
	v_mul_hi_u32 v4, v5, v4
	v_mul_lo_u32 v7, v4, s18
	v_add_u32_e32 v8, 1, v4
	v_sub_u32_e32 v7, v5, v7
	v_subrev_u32_e32 v9, s18, v7
	v_cmp_le_u32_e32 vcc, s18, v7
	v_cndmask_b32_e32 v7, v7, v9, vcc
	v_cndmask_b32_e32 v4, v4, v8, vcc
	v_add_u32_e32 v8, 1, v4
	v_cmp_le_u32_e32 vcc, s18, v7
	v_cndmask_b32_e32 v7, v4, v8, vcc
	v_mov_b32_e32 v8, v3
.LBB0_6:                                ;   in Loop: Header=BB0_2 Depth=1
	s_or_b64 exec, exec, s[0:1]
	v_mul_lo_u32 v4, v8, s18
	v_mul_lo_u32 v11, v7, s19
	v_mad_u64_u32 v[9:10], s[0:1], v7, s18, 0
	s_load_dwordx2 s[0:1], s[6:7], 0x0
	s_add_u32 s16, s16, 1
	v_add3_u32 v4, v10, v11, v4
	v_sub_co_u32_e32 v5, vcc, v5, v9
	v_subb_co_u32_e32 v4, vcc, v6, v4, vcc
	s_waitcnt lgkmcnt(0)
	v_mul_lo_u32 v4, s0, v4
	v_mul_lo_u32 v6, s1, v5
	v_mad_u64_u32 v[1:2], s[0:1], s0, v5, v[1:2]
	s_addc_u32 s17, s17, 0
	s_add_u32 s6, s6, 8
	v_add3_u32 v2, v6, v2, v4
	v_mov_b32_e32 v4, s10
	v_mov_b32_e32 v5, s11
	s_addc_u32 s7, s7, 0
	v_cmp_ge_u64_e32 vcc, s[16:17], v[4:5]
	s_add_u32 s14, s14, 8
	s_addc_u32 s15, s15, 0
	s_cbranch_vccnz .LBB0_9
; %bb.7:                                ;   in Loop: Header=BB0_2 Depth=1
	v_mov_b32_e32 v5, v7
	v_mov_b32_e32 v6, v8
	s_branch .LBB0_2
.LBB0_8:
	v_mov_b32_e32 v8, v6
	v_mov_b32_e32 v7, v5
.LBB0_9:
	s_lshl_b64 s[0:1], s[10:11], 3
	s_add_u32 s0, s12, s0
	s_addc_u32 s1, s13, s1
	s_load_dwordx2 s[6:7], s[0:1], 0x0
	s_load_dwordx2 s[10:11], s[4:5], 0x20
	s_waitcnt lgkmcnt(0)
	v_mad_u64_u32 v[1:2], s[0:1], s6, v7, v[1:2]
	s_mov_b32 s0, 0x253c826
	v_mul_lo_u32 v3, s6, v8
	v_mul_lo_u32 v4, s7, v7
	v_mul_hi_u32 v5, v0, s0
	v_cmp_gt_u64_e64 s[0:1], s[10:11], v[7:8]
	v_add3_u32 v2, v4, v2, v3
	v_mul_u32_u24_e32 v3, 0x6e, v5
	v_sub_u32_e32 v28, v0, v3
	v_lshlrev_b64 v[30:31], 3, v[1:2]
	v_lshl_add_u32 v34, v28, 3, 0
	s_and_saveexec_b64 s[4:5], s[0:1]
	s_cbranch_execz .LBB0_11
; %bb.10:
	v_mov_b32_e32 v29, 0
	v_mov_b32_e32 v0, s3
	v_add_co_u32_e32 v2, vcc, s2, v30
	v_addc_co_u32_e32 v3, vcc, v0, v31, vcc
	v_lshlrev_b64 v[0:1], 3, v[28:29]
	v_add_co_u32_e32 v0, vcc, v2, v0
	v_addc_co_u32_e32 v1, vcc, v3, v1, vcc
	global_load_dwordx2 v[2:3], v[0:1], off
	global_load_dwordx2 v[4:5], v[0:1], off offset:880
	global_load_dwordx2 v[6:7], v[0:1], off offset:1760
	global_load_dwordx2 v[8:9], v[0:1], off offset:2640
	v_add_co_u32_e32 v10, vcc, 0x1000, v0
	v_addc_co_u32_e32 v11, vcc, 0, v1, vcc
	global_load_dwordx2 v[12:13], v[0:1], off offset:3520
	global_load_dwordx2 v[14:15], v[10:11], off offset:304
	v_add_u32_e32 v0, 0x400, v34
	s_waitcnt vmcnt(4)
	ds_write2_b64 v34, v[2:3], v[4:5] offset1:110
	s_waitcnt vmcnt(2)
	ds_write2_b64 v0, v[6:7], v[8:9] offset0:92 offset1:202
	v_add_u32_e32 v0, 0xc00, v34
	s_waitcnt vmcnt(0)
	ds_write2_b64 v0, v[12:13], v[14:15] offset0:56 offset1:166
.LBB0_11:
	s_or_b64 exec, exec, s[4:5]
	v_add_u32_e32 v29, 0xc00, v34
	s_waitcnt lgkmcnt(0)
	s_barrier
	ds_read2_b64 v[8:11], v34 offset1:60
	ds_read_b64 v[32:33], v34 offset:4800
	ds_read2_b64 v[16:19], v34 offset0:120 offset1:180
	ds_read2_b64 v[12:15], v29 offset0:96 offset1:156
	s_mov_b32 s6, 0x3ed4b147
	s_mov_b32 s7, 0xbf27a4f4
	s_waitcnt lgkmcnt(2)
	v_sub_f32_e32 v39, v11, v33
	v_add_f32_e32 v35, v32, v10
	v_mul_f32_e32 v43, 0xbf68dda4, v39
	s_waitcnt lgkmcnt(0)
	v_sub_f32_e32 v44, v17, v15
	v_add_f32_e32 v42, v33, v11
	v_fma_f32 v0, v35, s6, -v43
	v_add_f32_e32 v38, v14, v16
	v_mul_f32_e32 v48, 0xbf4178ce, v44
	v_add_f32_e32 v0, v8, v0
	v_fma_f32 v1, v38, s7, -v48
	v_mul_f32_e32 v51, 0x3ed4b147, v42
	v_add_f32_e32 v47, v15, v17
	v_sub_f32_e32 v36, v10, v32
	v_add_f32_e32 v0, v1, v0
	v_mov_b32_e32 v1, v51
	v_mul_f32_e32 v52, 0xbf27a4f4, v47
	v_fmac_f32_e32 v1, 0xbf68dda4, v36
	v_sub_f32_e32 v40, v16, v14
	v_mov_b32_e32 v2, v52
	v_sub_f32_e32 v49, v19, v13
	v_add_f32_e32 v1, v9, v1
	v_fmac_f32_e32 v2, 0xbf4178ce, v40
	s_mov_b32 s10, 0xbf75a155
	v_add_f32_e32 v41, v12, v18
	v_mul_f32_e32 v56, 0x3e903f40, v49
	v_add_f32_e32 v1, v2, v1
	v_fma_f32 v2, v41, s10, -v56
	v_add_f32_e32 v0, v2, v0
	v_add_u32_e32 v2, 0x800, v34
	v_add_u32_e32 v37, 0x400, v34
	ds_read2_b64 v[20:23], v2 offset0:104 offset1:164
	ds_read2_b64 v[24:27], v37 offset0:112 offset1:172
	v_add_f32_e32 v53, v13, v19
	v_mul_f32_e32 v58, 0xbf75a155, v53
	v_sub_f32_e32 v45, v18, v12
	v_mov_b32_e32 v2, v58
	s_waitcnt lgkmcnt(0)
	v_sub_f32_e32 v57, v25, v23
	v_fmac_f32_e32 v2, 0x3e903f40, v45
	s_mov_b32 s11, 0xbe11bafb
	v_add_f32_e32 v46, v22, v24
	v_mul_f32_e32 v60, 0x3f7d64f0, v57
	v_add_f32_e32 v59, v23, v25
	v_add_f32_e32 v1, v2, v1
	v_fma_f32 v2, v46, s11, -v60
	v_mul_f32_e32 v63, 0xbe11bafb, v59
	v_add_f32_e32 v0, v2, v0
	v_sub_f32_e32 v50, v24, v22
	v_mov_b32_e32 v2, v63
	v_add_f32_e32 v62, v21, v27
	v_sub_f32_e32 v61, v27, v21
	v_fmac_f32_e32 v2, 0x3f7d64f0, v50
	s_mov_b32 s12, 0x3f575c64
	v_mul_f32_e32 v65, 0x3f575c64, v62
	v_add_f32_e32 v54, v20, v26
	v_mul_f32_e32 v64, 0x3f0a6770, v61
	v_add_f32_e32 v1, v2, v1
	v_sub_f32_e32 v55, v26, v20
	v_mov_b32_e32 v3, v65
	v_fma_f32 v2, v54, s12, -v64
	v_mul_f32_e32 v66, 0xbf7d64f0, v39
	v_fmac_f32_e32 v3, 0x3f0a6770, v55
	v_add_f32_e32 v2, v2, v0
	v_fma_f32 v0, v35, s11, -v66
	v_mul_f32_e32 v67, 0x3e903f40, v44
	v_add_f32_e32 v3, v3, v1
	v_add_f32_e32 v0, v8, v0
	v_fma_f32 v1, v38, s10, -v67
	v_mul_f32_e32 v68, 0x3f68dda4, v49
	v_add_f32_e32 v0, v1, v0
	v_fma_f32 v1, v41, s6, -v68
	v_mul_f32_e32 v69, 0xbf0a6770, v57
	;; [unrolled: 3-line block ×4, first 2 shown]
	v_add_f32_e32 v0, v1, v0
	v_mov_b32_e32 v1, v71
	v_mul_f32_e32 v72, 0xbf75a155, v47
	v_fmac_f32_e32 v1, 0xbf7d64f0, v36
	v_mov_b32_e32 v4, v72
	v_add_f32_e32 v1, v9, v1
	v_fmac_f32_e32 v4, 0x3e903f40, v40
	v_mul_f32_e32 v73, 0x3ed4b147, v53
	v_add_f32_e32 v1, v4, v1
	v_mov_b32_e32 v4, v73
	v_fmac_f32_e32 v4, 0x3f68dda4, v45
	v_mul_f32_e32 v74, 0x3f575c64, v59
	v_add_f32_e32 v1, v4, v1
	v_mov_b32_e32 v4, v74
	;; [unrolled: 4-line block ×3, first 2 shown]
	v_fmac_f32_e32 v4, 0xbf4178ce, v55
	v_mul_f32_e32 v76, 0xbf4178ce, v39
	v_add_f32_e32 v1, v4, v1
	v_fma_f32 v4, v35, s7, -v76
	v_mul_f32_e32 v77, 0x3f7d64f0, v44
	v_add_f32_e32 v4, v8, v4
	v_fma_f32 v5, v38, s11, -v77
	v_mul_f32_e32 v80, 0xbf27a4f4, v42
	v_add_f32_e32 v4, v5, v4
	v_mov_b32_e32 v5, v80
	v_mul_f32_e32 v81, 0xbe11bafb, v47
	v_fmac_f32_e32 v5, 0xbf4178ce, v36
	v_mov_b32_e32 v6, v81
	v_add_f32_e32 v5, v9, v5
	v_fmac_f32_e32 v6, 0x3f7d64f0, v40
	v_mul_f32_e32 v78, 0xbf0a6770, v49
	v_add_f32_e32 v5, v6, v5
	v_fma_f32 v6, v41, s12, -v78
	v_mul_f32_e32 v82, 0x3f575c64, v53
	v_add_f32_e32 v4, v6, v4
	v_mov_b32_e32 v6, v82
	v_fmac_f32_e32 v6, 0xbf0a6770, v45
	v_mul_f32_e32 v79, 0xbe903f40, v57
	v_add_f32_e32 v5, v6, v5
	v_fma_f32 v6, v46, s10, -v79
	v_mul_f32_e32 v84, 0xbf75a155, v59
	v_add_f32_e32 v4, v6, v4
	v_mov_b32_e32 v6, v84
	v_fmac_f32_e32 v6, 0xbe903f40, v50
	v_mul_f32_e32 v85, 0x3ed4b147, v62
	v_mul_f32_e32 v83, 0x3f68dda4, v61
	v_add_f32_e32 v5, v6, v5
	v_mov_b32_e32 v7, v85
	v_fma_f32 v6, v54, s6, -v83
	v_mul_f32_e32 v87, 0xbe903f40, v39
	v_fmac_f32_e32 v7, 0x3f68dda4, v55
	v_add_f32_e32 v6, v6, v4
	v_fma_f32 v4, v35, s10, -v87
	v_mul_f32_e32 v86, 0x3f0a6770, v44
	v_add_f32_e32 v7, v7, v5
	v_add_f32_e32 v4, v8, v4
	v_fma_f32 v5, v38, s12, -v86
	v_mul_f32_e32 v88, 0xbf4178ce, v49
	v_add_f32_e32 v4, v5, v4
	v_fma_f32 v5, v41, s7, -v88
	v_mul_f32_e32 v89, 0x3f68dda4, v57
	;; [unrolled: 3-line block ×4, first 2 shown]
	v_add_f32_e32 v4, v5, v4
	v_mov_b32_e32 v5, v91
	v_mul_f32_e32 v95, 0x3f575c64, v47
	v_fmac_f32_e32 v5, 0xbe903f40, v36
	v_mov_b32_e32 v92, v95
	v_add_f32_e32 v5, v9, v5
	v_fmac_f32_e32 v92, 0x3f0a6770, v40
	v_add_f32_e32 v5, v92, v5
	v_mul_f32_e32 v92, 0xbf27a4f4, v53
	v_mov_b32_e32 v93, v92
	v_fmac_f32_e32 v93, 0xbf4178ce, v45
	v_add_f32_e32 v5, v93, v5
	v_mul_f32_e32 v93, 0x3ed4b147, v59
	v_mov_b32_e32 v94, v93
	;; [unrolled: 4-line block ×3, first 2 shown]
	v_fmac_f32_e32 v96, 0xbf7d64f0, v55
	v_add_f32_e32 v5, v96, v5
	v_cmp_gt_u32_e32 vcc, 60, v28
	s_barrier
	s_and_saveexec_b64 s[4:5], vcc
	s_cbranch_execz .LBB0_13
; %bb.12:
	v_mul_f32_e32 v96, 0x3ed4b147, v35
	v_mul_f32_e32 v97, 0xbf68dda4, v36
	;; [unrolled: 1-line block ×5, first 2 shown]
	v_sub_f32_e32 v51, v51, v97
	v_add_f32_e32 v43, v96, v43
	v_mul_f32_e32 v111, 0x3f0a6770, v40
	v_mul_f32_e32 v112, 0xbf75a155, v41
	;; [unrolled: 1-line block ×3, first 2 shown]
	v_sub_f32_e32 v91, v91, v103
	v_add_f32_e32 v51, v9, v51
	v_sub_f32_e32 v52, v52, v105
	v_add_f32_e32 v43, v8, v43
	v_add_f32_e32 v48, v104, v48
	v_mul_f32_e32 v120, 0xbe11bafb, v46
	v_mul_f32_e32 v121, 0x3f7d64f0, v50
	v_sub_f32_e32 v95, v95, v111
	v_add_f32_e32 v91, v9, v91
	v_add_f32_e32 v51, v52, v51
	v_sub_f32_e32 v52, v58, v113
	v_add_f32_e32 v43, v48, v43
	v_add_f32_e32 v48, v112, v56
	v_mul_f32_e32 v111, 0x3f575c64, v54
	v_add_f32_e32 v91, v95, v91
	v_mul_f32_e32 v95, 0x3f0a6770, v55
	v_add_f32_e32 v51, v52, v51
	v_sub_f32_e32 v52, v63, v121
	v_add_f32_e32 v43, v48, v43
	v_add_f32_e32 v48, v120, v60
	v_add_f32_e32 v51, v52, v51
	v_sub_f32_e32 v52, v65, v95
	v_add_f32_e32 v43, v48, v43
	v_add_f32_e32 v48, v111, v64
	;; [unrolled: 1-line block ×4, first 2 shown]
	v_mul_f32_e32 v48, 0x3f575c64, v42
	v_mov_b32_e32 v42, v48
	v_mul_f32_e32 v47, 0x3ed4b147, v47
	v_fmac_f32_e32 v42, 0x3f0a6770, v36
	v_mov_b32_e32 v43, v47
	v_add_f32_e32 v42, v9, v42
	v_fmac_f32_e32 v43, 0x3f68dda4, v40
	v_mul_f32_e32 v53, 0xbe11bafb, v53
	v_add_f32_e32 v42, v43, v42
	v_mov_b32_e32 v43, v53
	v_fmac_f32_e32 v43, 0x3f7d64f0, v45
	v_mul_f32_e32 v56, 0xbf27a4f4, v59
	v_add_f32_e32 v42, v43, v42
	v_mov_b32_e32 v43, v56
	;; [unrolled: 4-line block ×3, first 2 shown]
	v_add_f32_e32 v10, v8, v10
	v_fmac_f32_e32 v43, 0x3e903f40, v55
	v_mul_f32_e32 v39, 0xbf0a6770, v39
	v_add_f32_e32 v10, v10, v16
	v_add_f32_e32 v43, v43, v42
	v_mov_b32_e32 v42, v39
	v_mul_f32_e32 v44, 0xbf68dda4, v44
	v_add_f32_e32 v10, v10, v18
	v_mul_f32_e32 v119, 0xbf4178ce, v45
	v_fmac_f32_e32 v42, 0x3f575c64, v35
	v_mov_b32_e32 v59, v44
	v_add_f32_e32 v11, v9, v11
	v_add_f32_e32 v10, v10, v24
	v_mul_f32_e32 v103, 0x3f68dda4, v50
	v_sub_f32_e32 v92, v92, v119
	v_add_f32_e32 v42, v8, v42
	v_fmac_f32_e32 v59, 0x3ed4b147, v38
	v_mul_f32_e32 v49, 0xbf7d64f0, v49
	v_add_f32_e32 v11, v11, v17
	v_add_f32_e32 v10, v10, v26
	;; [unrolled: 1-line block ×3, first 2 shown]
	v_sub_f32_e32 v93, v93, v103
	v_add_f32_e32 v42, v59, v42
	v_mov_b32_e32 v59, v49
	v_add_f32_e32 v11, v11, v19
	v_add_f32_e32 v10, v10, v20
	v_mul_f32_e32 v98, 0xbe11bafb, v35
	v_mul_f32_e32 v100, 0xbf27a4f4, v35
	;; [unrolled: 1-line block ×3, first 2 shown]
	v_add_f32_e32 v91, v93, v91
	v_mul_f32_e32 v93, 0xbf7d64f0, v55
	v_fmac_f32_e32 v59, 0xbe11bafb, v41
	v_mul_f32_e32 v57, 0xbf4178ce, v57
	v_add_f32_e32 v11, v11, v25
	v_add_f32_e32 v10, v10, v22
	v_mul_f32_e32 v99, 0xbf7d64f0, v36
	v_mul_f32_e32 v101, 0xbf4178ce, v36
	v_sub_f32_e32 v93, v94, v93
	v_add_f32_e32 v102, v102, v87
	v_add_f32_e32 v76, v100, v76
	;; [unrolled: 1-line block ×4, first 2 shown]
	v_mov_b32_e32 v59, v57
	v_add_f32_e32 v11, v11, v27
	v_add_f32_e32 v10, v10, v12
	v_fma_f32 v12, v35, s12, -v39
	v_mul_f32_e32 v106, 0xbf75a155, v38
	v_mul_f32_e32 v107, 0x3e903f40, v40
	v_mul_f32_e32 v108, 0xbe11bafb, v38
	v_mul_f32_e32 v109, 0x3f7d64f0, v40
	v_mul_f32_e32 v110, 0x3f575c64, v38
	v_add_f32_e32 v87, v93, v91
	v_add_f32_e32 v91, v8, v102
	v_sub_f32_e32 v80, v80, v101
	v_add_f32_e32 v76, v8, v76
	v_sub_f32_e32 v71, v71, v99
	v_add_f32_e32 v66, v8, v66
	v_fmac_f32_e32 v59, 0xbf27a4f4, v46
	v_add_f32_e32 v11, v11, v21
	v_fmac_f32_e32 v48, 0xbf0a6770, v36
	v_add_f32_e32 v8, v8, v12
	v_fma_f32 v12, v38, s6, -v44
	v_mul_f32_e32 v114, 0x3ed4b147, v41
	v_mul_f32_e32 v115, 0x3f68dda4, v45
	v_mul_f32_e32 v116, 0x3f575c64, v41
	v_mul_f32_e32 v117, 0xbf0a6770, v45
	v_mul_f32_e32 v118, 0xbf27a4f4, v41
	v_add_f32_e32 v86, v110, v86
	v_add_f32_e32 v80, v9, v80
	v_sub_f32_e32 v81, v81, v109
	v_add_f32_e32 v77, v108, v77
	v_add_f32_e32 v71, v9, v71
	v_sub_f32_e32 v72, v72, v107
	v_add_f32_e32 v67, v106, v67
	v_add_f32_e32 v42, v59, v42
	v_mul_f32_e32 v59, 0xbe903f40, v61
	v_add_f32_e32 v11, v11, v23
	v_add_f32_e32 v9, v9, v48
	v_fmac_f32_e32 v47, 0xbf68dda4, v40
	v_add_f32_e32 v8, v12, v8
	v_fma_f32 v12, v41, s11, -v49
	v_mul_f32_e32 v122, 0x3f575c64, v46
	v_mul_f32_e32 v123, 0xbf0a6770, v50
	;; [unrolled: 1-line block ×5, first 2 shown]
	v_add_f32_e32 v86, v86, v91
	v_add_f32_e32 v88, v118, v88
	v_add_f32_e32 v80, v81, v80
	v_sub_f32_e32 v81, v82, v117
	v_add_f32_e32 v76, v77, v76
	v_add_f32_e32 v77, v116, v78
	;; [unrolled: 1-line block ×3, first 2 shown]
	v_sub_f32_e32 v72, v73, v115
	v_add_f32_e32 v66, v67, v66
	v_add_f32_e32 v67, v114, v68
	v_mov_b32_e32 v60, v59
	v_add_f32_e32 v11, v11, v13
	v_add_f32_e32 v9, v47, v9
	v_fmac_f32_e32 v53, 0xbf7d64f0, v45
	v_add_f32_e32 v8, v12, v8
	v_fma_f32 v12, v46, s7, -v57
	v_mul_f32_e32 v119, 0xbf27a4f4, v54
	v_mul_f32_e32 v92, 0xbf4178ce, v55
	;; [unrolled: 1-line block ×5, first 2 shown]
	v_add_f32_e32 v86, v88, v86
	v_add_f32_e32 v88, v126, v89
	;; [unrolled: 1-line block ×3, first 2 shown]
	v_sub_f32_e32 v81, v84, v125
	v_add_f32_e32 v76, v77, v76
	v_add_f32_e32 v77, v124, v79
	v_add_f32_e32 v71, v72, v71
	v_sub_f32_e32 v72, v74, v123
	v_add_f32_e32 v66, v67, v66
	v_add_f32_e32 v67, v122, v69
	v_fmac_f32_e32 v60, 0xbf75a155, v54
	v_add_f32_e32 v11, v11, v15
	v_add_f32_e32 v10, v10, v14
	;; [unrolled: 1-line block ×3, first 2 shown]
	v_fmac_f32_e32 v56, 0xbf4178ce, v50
	v_add_f32_e32 v8, v12, v8
	v_fma_f32 v12, v54, s10, -v59
	s_movk_i32 s6, 0x50
	v_add_f32_e32 v86, v88, v86
	v_add_f32_e32 v88, v127, v90
	;; [unrolled: 1-line block ×3, first 2 shown]
	v_sub_f32_e32 v81, v85, v94
	v_add_f32_e32 v76, v77, v76
	v_add_f32_e32 v77, v103, v83
	;; [unrolled: 1-line block ×3, first 2 shown]
	v_sub_f32_e32 v72, v75, v92
	v_add_f32_e32 v66, v67, v66
	v_add_f32_e32 v67, v119, v70
	v_add_f32_e32 v42, v60, v42
	v_add_f32_e32 v11, v11, v33
	v_add_f32_e32 v10, v10, v32
	v_add_f32_e32 v9, v56, v9
	v_fmac_f32_e32 v58, 0xbe903f40, v55
	v_add_f32_e32 v8, v12, v8
	v_mad_u32_u24 v12, v28, s6, v34
	v_add_f32_e32 v86, v88, v86
	v_add_f32_e32 v80, v81, v80
	v_add_f32_e32 v79, v77, v76
	v_add_f32_e32 v71, v72, v71
	v_add_f32_e32 v70, v67, v66
	v_add_f32_e32 v9, v58, v9
	ds_write2_b64 v12, v[10:11], v[42:43] offset1:1
	ds_write2_b64 v12, v[51:52], v[70:71] offset0:2 offset1:3
	ds_write2_b64 v12, v[79:80], v[86:87] offset0:4 offset1:5
	ds_write2_b64 v12, v[4:5], v[6:7] offset0:6 offset1:7
	ds_write2_b64 v12, v[0:1], v[2:3] offset0:8 offset1:9
	ds_write_b64 v12, v[8:9] offset:80
.LBB0_13:
	s_or_b64 exec, exec, s[4:5]
	s_movk_i32 s4, 0x75
	v_mul_lo_u16_sdwa v8, v28, s4 dst_sel:DWORD dst_unused:UNUSED_PAD src0_sel:BYTE_0 src1_sel:DWORD
	v_sub_u16_sdwa v9, v28, v8 dst_sel:DWORD dst_unused:UNUSED_PAD src0_sel:DWORD src1_sel:BYTE_1
	v_lshrrev_b16_e32 v9, 1, v9
	v_and_b32_e32 v9, 0x7f, v9
	v_add_u16_sdwa v8, v9, v8 dst_sel:DWORD dst_unused:UNUSED_PAD src0_sel:DWORD src1_sel:BYTE_1
	v_lshrrev_b16_e32 v35, 3, v8
	v_mul_lo_u16_e32 v8, 11, v35
	v_sub_u16_e32 v36, v28, v8
	v_mov_b32_e32 v8, 5
	v_mul_u32_u24_sdwa v8, v36, v8 dst_sel:DWORD dst_unused:UNUSED_PAD src0_sel:BYTE_0 src1_sel:DWORD
	v_lshlrev_b32_e32 v16, 3, v8
	s_waitcnt lgkmcnt(0)
	s_barrier
	global_load_dwordx4 v[8:11], v16, s[8:9]
	global_load_dwordx4 v[12:15], v16, s[8:9] offset:16
	global_load_dwordx2 v[32:33], v16, s[8:9] offset:32
	ds_read2_b64 v[16:19], v34 offset1:110
	ds_read2_b64 v[20:23], v37 offset0:92 offset1:202
	ds_read2_b64 v[24:27], v29 offset0:56 offset1:166
	v_mov_b32_e32 v29, 3
	v_mul_u32_u24_e32 v35, 0x210, v35
	v_lshlrev_b32_sdwa v29, v29, v36 dst_sel:DWORD dst_unused:UNUSED_PAD src0_sel:DWORD src1_sel:BYTE_0
	v_add3_u32 v29, 0, v35, v29
	s_movk_i32 s4, 0x42
	v_cmp_gt_u32_e32 vcc, s4, v28
	s_waitcnt vmcnt(0) lgkmcnt(0)
	s_barrier
	v_mul_f32_e32 v35, v9, v19
	v_mul_f32_e32 v9, v9, v18
	;; [unrolled: 1-line block ×10, first 2 shown]
	v_fmac_f32_e32 v35, v8, v18
	v_fma_f32 v18, v8, v19, -v9
	v_fma_f32 v8, v10, v21, -v11
	;; [unrolled: 1-line block ×4, first 2 shown]
	v_fmac_f32_e32 v36, v10, v20
	v_fmac_f32_e32 v37, v12, v22
	v_fma_f32 v10, v14, v25, -v15
	v_fmac_f32_e32 v39, v32, v26
	v_sub_f32_e32 v22, v9, v11
	v_add_f32_e32 v23, v18, v9
	v_add_f32_e32 v9, v9, v11
	v_fmac_f32_e32 v38, v14, v24
	v_sub_f32_e32 v19, v8, v10
	v_add_f32_e32 v14, v17, v8
	v_add_f32_e32 v8, v8, v10
	;; [unrolled: 1-line block ×3, first 2 shown]
	v_fmac_f32_e32 v18, -0.5, v9
	v_add_f32_e32 v13, v36, v38
	v_add_f32_e32 v15, v35, v37
	v_sub_f32_e32 v24, v37, v39
	v_fma_f32 v17, -0.5, v8, v17
	v_fmac_f32_e32 v35, -0.5, v21
	v_mov_b32_e32 v26, v18
	v_add_f32_e32 v12, v16, v36
	v_sub_f32_e32 v20, v36, v38
	v_fma_f32 v16, -0.5, v13, v16
	v_add_f32_e32 v10, v14, v10
	v_add_f32_e32 v11, v23, v11
	v_mov_b32_e32 v23, v17
	v_mov_b32_e32 v25, v35
	v_fmac_f32_e32 v18, 0xbf5db3d7, v24
	v_fmac_f32_e32 v26, 0x3f5db3d7, v24
	v_add_f32_e32 v13, v15, v39
	v_mov_b32_e32 v21, v16
	v_fmac_f32_e32 v17, 0xbf5db3d7, v20
	v_fmac_f32_e32 v35, 0x3f5db3d7, v22
	v_add_f32_e32 v9, v10, v11
	v_sub_f32_e32 v15, v10, v11
	v_fmac_f32_e32 v23, 0x3f5db3d7, v20
	v_fmac_f32_e32 v25, 0xbf5db3d7, v22
	v_mul_f32_e32 v10, 0xbf5db3d7, v18
	v_mul_f32_e32 v11, -0.5, v18
	v_mul_f32_e32 v20, 0xbf5db3d7, v26
	v_mul_f32_e32 v22, 0.5, v26
	v_add_f32_e32 v12, v12, v38
	v_fmac_f32_e32 v16, 0x3f5db3d7, v19
	v_fmac_f32_e32 v21, 0xbf5db3d7, v19
	v_fmac_f32_e32 v10, -0.5, v35
	v_fmac_f32_e32 v11, 0x3f5db3d7, v35
	v_fmac_f32_e32 v20, 0.5, v25
	v_fmac_f32_e32 v22, 0x3f5db3d7, v25
	v_add_f32_e32 v8, v12, v13
	v_sub_f32_e32 v14, v12, v13
	v_add_f32_e32 v12, v16, v10
	v_add_f32_e32 v13, v17, v11
	v_sub_f32_e32 v18, v16, v10
	v_sub_f32_e32 v19, v17, v11
	v_add_f32_e32 v10, v21, v20
	v_add_f32_e32 v11, v23, v22
	v_sub_f32_e32 v16, v21, v20
	v_sub_f32_e32 v17, v23, v22
	ds_write2_b64 v29, v[8:9], v[10:11] offset1:11
	ds_write2_b64 v29, v[12:13], v[14:15] offset0:22 offset1:33
	ds_write2_b64 v29, v[16:17], v[18:19] offset0:44 offset1:55
	s_waitcnt lgkmcnt(0)
	s_barrier
	s_and_saveexec_b64 s[4:5], vcc
	s_cbranch_execz .LBB0_15
; %bb.14:
	v_add_u32_e32 v0, 0x800, v34
	ds_read2_b64 v[8:11], v34 offset1:66
	ds_read2_b64 v[12:15], v34 offset0:132 offset1:198
	ds_read2_b64 v[16:19], v0 offset0:8 offset1:74
	;; [unrolled: 1-line block ×3, first 2 shown]
	v_add_u32_e32 v0, 0x1000, v34
	ds_read2_b64 v[0:3], v0 offset0:16 offset1:82
.LBB0_15:
	s_or_b64 exec, exec, s[4:5]
	s_waitcnt lgkmcnt(0)
	s_barrier
	s_and_saveexec_b64 s[4:5], vcc
	s_cbranch_execz .LBB0_17
; %bb.16:
	v_add_u32_e32 v20, 0xffffffbe, v28
	v_cndmask_b32_e32 v20, v20, v28, vcc
	v_mul_i32_i24_e32 v20, 9, v20
	v_mov_b32_e32 v21, 0
	v_lshlrev_b64 v[20:21], 3, v[20:21]
	v_mov_b32_e32 v22, s9
	v_add_co_u32_e32 v32, vcc, s8, v20
	v_addc_co_u32_e32 v33, vcc, v22, v21, vcc
	global_load_dwordx4 v[20:23], v[32:33], off offset:440
	global_load_dwordx4 v[24:27], v[32:33], off offset:456
	global_load_dwordx4 v[35:38], v[32:33], off offset:488
	global_load_dwordx4 v[39:42], v[32:33], off offset:472
	global_load_dwordx2 v[43:44], v[32:33], off offset:504
	s_waitcnt vmcnt(4)
	v_mul_f32_e32 v29, v12, v23
	s_waitcnt vmcnt(3)
	v_mul_f32_e32 v32, v16, v27
	s_waitcnt vmcnt(2)
	v_mul_f32_e32 v33, v0, v38
	s_waitcnt vmcnt(1)
	v_mul_f32_e32 v45, v4, v42
	v_mul_f32_e32 v23, v13, v23
	v_mul_f32_e32 v27, v17, v27
	;; [unrolled: 1-line block ×4, first 2 shown]
	s_waitcnt vmcnt(0)
	v_mul_f32_e32 v48, v3, v44
	v_mul_f32_e32 v49, v7, v36
	;; [unrolled: 1-line block ×3, first 2 shown]
	v_fma_f32 v13, v13, v22, -v29
	v_fma_f32 v17, v17, v26, -v32
	;; [unrolled: 1-line block ×4, first 2 shown]
	v_mul_f32_e32 v38, v1, v38
	v_mul_f32_e32 v36, v6, v36
	v_fmac_f32_e32 v46, v14, v24
	v_fmac_f32_e32 v47, v18, v39
	;; [unrolled: 1-line block ×4, first 2 shown]
	v_fma_f32 v2, v3, v43, -v44
	v_sub_f32_e32 v1, v13, v17
	v_sub_f32_e32 v3, v29, v32
	v_mul_f32_e32 v42, v5, v42
	v_mul_f32_e32 v50, v11, v21
	;; [unrolled: 1-line block ×4, first 2 shown]
	v_fma_f32 v6, v7, v35, -v36
	v_sub_f32_e32 v35, v47, v46
	v_add_f32_e32 v36, v1, v3
	v_sub_f32_e32 v3, v49, v48
	v_mul_f32_e32 v21, v10, v21
	v_fmac_f32_e32 v38, v0, v37
	v_fmac_f32_e32 v42, v4, v41
	;; [unrolled: 1-line block ×3, first 2 shown]
	v_fma_f32 v0, v15, v24, -v25
	v_fma_f32 v4, v19, v39, -v40
	v_add_f32_e32 v35, v35, v3
	v_add_f32_e32 v3, v46, v48
	v_fmac_f32_e32 v23, v12, v22
	v_fma_f32 v10, v11, v20, -v21
	v_sub_f32_e32 v12, v46, v47
	v_sub_f32_e32 v14, v48, v49
	v_add_f32_e32 v15, v47, v49
	v_sub_f32_e32 v19, v0, v4
	v_sub_f32_e32 v20, v2, v6
	v_add_f32_e32 v21, v4, v6
	v_fma_f32 v40, -0.5, v3, v50
	v_sub_f32_e32 v3, v4, v0
	v_sub_f32_e32 v43, v6, v2
	v_fmac_f32_e32 v27, v16, v26
	v_add_f32_e32 v5, v17, v32
	v_sub_f32_e32 v16, v0, v2
	v_sub_f32_e32 v25, v17, v13
	;; [unrolled: 1-line block ×3, first 2 shown]
	v_add_f32_e32 v12, v12, v14
	v_fma_f32 v14, -0.5, v15, v50
	v_add_f32_e32 v15, v19, v20
	v_fma_f32 v19, -0.5, v21, v10
	v_add_f32_e32 v43, v3, v43
	v_add_f32_e32 v3, v0, v2
	v_add_f32_e32 v0, v10, v0
	v_sub_f32_e32 v22, v46, v48
	v_fma_f32 v37, -0.5, v5, v9
	v_add_f32_e32 v5, v25, v26
	v_mov_b32_e32 v26, v19
	v_add_f32_e32 v0, v0, v4
	v_sub_f32_e32 v24, v47, v49
	v_mov_b32_e32 v25, v14
	v_fmac_f32_e32 v26, 0xbf737871, v22
	v_add_f32_e32 v0, v0, v6
	v_sub_f32_e32 v18, v4, v6
	v_fmac_f32_e32 v25, 0x3f737871, v16
	v_fmac_f32_e32 v26, 0xbf167918, v24
	v_fma_f32 v44, -0.5, v3, v10
	v_add_f32_e32 v10, v0, v2
	v_sub_f32_e32 v0, v23, v27
	v_sub_f32_e32 v2, v38, v42
	v_fmac_f32_e32 v25, 0x3f167918, v18
	v_fmac_f32_e32 v26, 0x3e9e377a, v15
	v_mov_b32_e32 v45, v44
	v_fmac_f32_e32 v19, 0x3f737871, v22
	v_add_f32_e32 v6, v0, v2
	v_sub_f32_e32 v2, v27, v23
	v_sub_f32_e32 v4, v42, v38
	v_fmac_f32_e32 v25, 0x3e9e377a, v12
	v_mul_f32_e32 v39, 0xbf4f1bbd, v26
	v_mov_b32_e32 v41, v40
	v_fmac_f32_e32 v45, 0x3f737871, v24
	v_fmac_f32_e32 v44, 0xbf737871, v24
	;; [unrolled: 1-line block ×4, first 2 shown]
	v_add_f32_e32 v0, v27, v42
	v_mul_f32_e32 v24, 0xbf167918, v26
	v_add_f32_e32 v4, v2, v4
	v_add_f32_e32 v2, v23, v38
	;; [unrolled: 1-line block ×3, first 2 shown]
	v_fmac_f32_e32 v39, 0x3f167918, v25
	v_fmac_f32_e32 v41, 0xbf737871, v18
	;; [unrolled: 1-line block ×4, first 2 shown]
	v_fma_f32 v18, -0.5, v0, v8
	v_fmac_f32_e32 v24, 0xbf4f1bbd, v25
	v_fma_f32 v25, -0.5, v2, v8
	v_add_f32_e32 v8, v8, v23
	v_sub_f32_e32 v7, v23, v38
	v_fma_f32 v20, -0.5, v33, v9
	v_mov_b32_e32 v21, v37
	v_add_f32_e32 v8, v8, v27
	v_sub_f32_e32 v11, v27, v42
	v_mov_b32_e32 v33, v20
	v_fmac_f32_e32 v21, 0xbf737871, v7
	v_fmac_f32_e32 v37, 0x3f737871, v7
	v_add_f32_e32 v9, v9, v13
	v_add_f32_e32 v8, v8, v42
	v_fmac_f32_e32 v33, 0x3f737871, v11
	v_fmac_f32_e32 v21, 0xbf167918, v11
	;; [unrolled: 1-line block ×5, first 2 shown]
	v_add_f32_e32 v9, v9, v17
	v_sub_f32_e32 v11, v13, v29
	v_sub_f32_e32 v13, v17, v32
	v_mov_b32_e32 v26, v25
	v_add_f32_e32 v23, v8, v38
	v_add_f32_e32 v8, v50, v46
	v_fmac_f32_e32 v41, 0x3f167918, v16
	v_fmac_f32_e32 v45, 0x3e9e377a, v43
	;; [unrolled: 1-line block ×4, first 2 shown]
	v_add_f32_e32 v9, v9, v32
	v_mov_b32_e32 v22, v18
	v_fmac_f32_e32 v26, 0xbf737871, v13
	v_fmac_f32_e32 v18, 0xbf737871, v11
	v_add_f32_e32 v8, v8, v47
	v_fmac_f32_e32 v21, 0x3e9e377a, v36
	v_fmac_f32_e32 v41, 0x3e9e377a, v35
	;; [unrolled: 1-line block ×6, first 2 shown]
	v_mul_f32_e32 v12, 0x3f4f1bbd, v19
	v_add_f32_e32 v16, v9, v29
	v_fmac_f32_e32 v22, 0x3f737871, v11
	v_fmac_f32_e32 v26, 0x3f167918, v11
	v_mul_f32_e32 v29, 0xbf737871, v45
	v_fmac_f32_e32 v25, 0x3f737871, v13
	v_fmac_f32_e32 v18, 0xbf167918, v13
	v_mul_f32_e32 v36, 0xbf167918, v19
	v_add_f32_e32 v8, v8, v49
	v_fmac_f32_e32 v33, 0xbf167918, v7
	v_mul_f32_e32 v51, 0xbe9e377a, v45
	v_fmac_f32_e32 v20, 0x3f167918, v7
	v_fmac_f32_e32 v40, 0x3e9e377a, v35
	v_mul_f32_e32 v35, 0x3e9e377a, v44
	v_fmac_f32_e32 v12, 0x3f167918, v14
	v_fmac_f32_e32 v22, 0x3f167918, v13
	;; [unrolled: 1-line block ×5, first 2 shown]
	v_mul_f32_e32 v32, 0xbf737871, v44
	v_fmac_f32_e32 v18, 0x3e9e377a, v6
	v_fmac_f32_e32 v36, 0x3f4f1bbd, v14
	v_add_f32_e32 v27, v8, v48
	v_fmac_f32_e32 v33, 0x3e9e377a, v5
	v_fmac_f32_e32 v51, 0x3f737871, v41
	;; [unrolled: 1-line block ×4, first 2 shown]
	v_sub_f32_e32 v7, v37, v12
	v_sub_f32_e32 v9, v16, v10
	v_fmac_f32_e32 v22, 0x3e9e377a, v6
	v_fmac_f32_e32 v25, 0x3e9e377a, v4
	;; [unrolled: 1-line block ×3, first 2 shown]
	v_sub_f32_e32 v6, v18, v36
	v_add_f32_e32 v17, v37, v12
	v_add_f32_e32 v19, v16, v10
	;; [unrolled: 1-line block ×5, first 2 shown]
	v_sub_f32_e32 v4, v25, v32
	v_sub_f32_e32 v8, v23, v27
	v_add_f32_e32 v11, v21, v39
	v_add_f32_e32 v13, v33, v51
	;; [unrolled: 1-line block ×5, first 2 shown]
	ds_write2_b64 v34, v[18:19], v[16:17] offset1:66
	ds_write2_b64 v34, v[14:15], v[12:13] offset0:132 offset1:198
	v_add_u32_e32 v12, 0x800, v34
	v_sub_f32_e32 v1, v21, v39
	v_sub_f32_e32 v3, v33, v51
	;; [unrolled: 1-line block ×5, first 2 shown]
	ds_write2_b64 v12, v[10:11], v[8:9] offset0:8 offset1:74
	ds_write2_b64 v12, v[6:7], v[4:5] offset0:140 offset1:206
	v_add_u32_e32 v4, 0x1000, v34
	ds_write2_b64 v4, v[2:3], v[0:1] offset0:16 offset1:82
.LBB0_17:
	s_or_b64 exec, exec, s[4:5]
	s_waitcnt lgkmcnt(0)
	s_barrier
	ds_read_b64 v[2:3], v34
	s_add_u32 s6, s8, 0x1448
	v_lshlrev_b32_e32 v0, 3, v28
	s_addc_u32 s7, s9, 0
	v_sub_u32_e32 v6, 0, v0
	v_cmp_ne_u32_e32 vcc, 0, v28
                                        ; implicit-def: $vgpr0
                                        ; implicit-def: $vgpr7
                                        ; implicit-def: $vgpr8
                                        ; implicit-def: $vgpr4_vgpr5
	s_and_saveexec_b64 s[4:5], vcc
	s_xor_b64 s[4:5], exec, s[4:5]
	s_cbranch_execz .LBB0_19
; %bb.18:
	v_mov_b32_e32 v29, 0
	v_lshlrev_b64 v[0:1], 3, v[28:29]
	v_mov_b32_e32 v4, s7
	v_add_co_u32_e32 v0, vcc, s6, v0
	v_addc_co_u32_e32 v1, vcc, v4, v1, vcc
	global_load_dwordx2 v[0:1], v[0:1], off
	ds_read_b64 v[4:5], v6 offset:5280
	s_waitcnt lgkmcnt(0)
	v_add_f32_e32 v9, v4, v2
	v_sub_f32_e32 v2, v2, v4
	v_add_f32_e32 v7, v5, v3
	v_sub_f32_e32 v3, v3, v5
	v_mul_f32_e32 v2, 0.5, v2
	v_mul_f32_e32 v4, 0.5, v7
	;; [unrolled: 1-line block ×3, first 2 shown]
	s_waitcnt vmcnt(0)
	v_mul_f32_e32 v5, v1, v2
	v_fma_f32 v8, v4, v1, v3
	v_fma_f32 v1, v4, v1, -v3
	v_fma_f32 v7, 0.5, v9, v5
	v_fma_f32 v3, v9, 0.5, -v5
	v_fma_f32 v8, -v0, v2, v8
	v_fma_f32 v1, -v0, v2, v1
	v_fmac_f32_e32 v7, v0, v4
	v_fma_f32 v0, -v0, v4, v3
	v_mov_b32_e32 v4, v28
	v_mov_b32_e32 v5, v29
                                        ; implicit-def: $vgpr2_vgpr3
.LBB0_19:
	s_andn2_saveexec_b64 s[4:5], s[4:5]
	s_cbranch_execz .LBB0_21
; %bb.20:
	v_mov_b32_e32 v8, 0
	ds_read_b32 v1, v8 offset:2644
	v_mov_b32_e32 v4, 0
	s_waitcnt lgkmcnt(1)
	v_add_f32_e32 v7, v2, v3
	v_sub_f32_e32 v0, v2, v3
	v_mov_b32_e32 v5, 0
	s_waitcnt lgkmcnt(0)
	v_xor_b32_e32 v1, 0x80000000, v1
	ds_write_b32 v8, v1 offset:2644
	v_mov_b32_e32 v1, 0
.LBB0_21:
	s_or_b64 exec, exec, s[4:5]
	s_waitcnt lgkmcnt(0)
	v_lshlrev_b64 v[2:3], 3, v[4:5]
	v_mov_b32_e32 v5, s7
	v_add_co_u32_e32 v4, vcc, s6, v2
	v_addc_co_u32_e32 v5, vcc, v5, v3, vcc
	global_load_dwordx2 v[9:10], v[4:5], off offset:880
	global_load_dwordx2 v[11:12], v[4:5], off offset:1760
	ds_write2_b32 v34, v7, v8 offset1:1
	ds_write_b64 v6, v[0:1] offset:5280
	ds_read_b64 v[0:1], v34 offset:880
	ds_read_b64 v[4:5], v6 offset:4400
	s_waitcnt lgkmcnt(0)
	v_add_f32_e32 v7, v0, v4
	v_sub_f32_e32 v0, v0, v4
	v_add_f32_e32 v8, v1, v5
	v_sub_f32_e32 v1, v1, v5
	v_mul_f32_e32 v0, 0.5, v0
	v_mul_f32_e32 v4, 0.5, v8
	;; [unrolled: 1-line block ×3, first 2 shown]
	s_waitcnt vmcnt(1)
	v_mul_f32_e32 v5, v10, v0
	v_fma_f32 v8, v4, v10, v1
	v_fma_f32 v1, v4, v10, -v1
	v_fma_f32 v10, 0.5, v7, v5
	v_fma_f32 v8, -v9, v0, v8
	v_fma_f32 v5, v7, 0.5, -v5
	v_fmac_f32_e32 v10, v9, v4
	v_fma_f32 v1, -v9, v0, v1
	v_fma_f32 v0, -v9, v4, v5
	ds_write2_b32 v34, v10, v8 offset0:220 offset1:221
	ds_write_b64 v6, v[0:1] offset:4400
	ds_read_b64 v[4:5], v34 offset:1760
	ds_read_b64 v[7:8], v6 offset:3520
	v_add_u32_e32 v0, 0x400, v34
	s_waitcnt lgkmcnt(0)
	v_add_f32_e32 v1, v4, v7
	v_sub_f32_e32 v4, v4, v7
	v_add_f32_e32 v9, v5, v8
	v_sub_f32_e32 v5, v5, v8
	v_mul_f32_e32 v4, 0.5, v4
	v_mul_f32_e32 v7, 0.5, v9
	;; [unrolled: 1-line block ×3, first 2 shown]
	s_waitcnt vmcnt(0)
	v_mul_f32_e32 v8, v12, v4
	v_fma_f32 v9, v7, v12, v5
	v_fma_f32 v10, 0.5, v1, v8
	v_fma_f32 v5, v7, v12, -v5
	v_fma_f32 v9, -v11, v4, v9
	v_fma_f32 v1, v1, 0.5, -v8
	v_fmac_f32_e32 v10, v11, v7
	v_fma_f32 v5, -v11, v4, v5
	v_fma_f32 v4, -v11, v7, v1
	ds_write2_b32 v0, v10, v9 offset0:184 offset1:185
	ds_write_b64 v6, v[4:5] offset:3520
	s_waitcnt lgkmcnt(0)
	s_barrier
	s_and_saveexec_b64 s[4:5], s[0:1]
	s_cbranch_execz .LBB0_24
; %bb.22:
	ds_read2_b64 v[5:8], v34 offset1:110
	v_mov_b32_e32 v1, s3
	v_add_co_u32_e32 v4, vcc, s2, v30
	v_addc_co_u32_e32 v1, vcc, v1, v31, vcc
	ds_read2_b64 v[9:12], v0 offset0:92 offset1:202
	v_add_u32_e32 v0, 0xc00, v34
	v_add_co_u32_e32 v2, vcc, v4, v2
	ds_read2_b64 v[13:16], v0 offset0:56 offset1:166
	v_addc_co_u32_e32 v3, vcc, v1, v3, vcc
	s_waitcnt lgkmcnt(2)
	global_store_dwordx2 v[2:3], v[5:6], off
	global_store_dwordx2 v[2:3], v[7:8], off offset:880
	s_waitcnt lgkmcnt(1)
	global_store_dwordx2 v[2:3], v[9:10], off offset:1760
	global_store_dwordx2 v[2:3], v[11:12], off offset:2640
	s_waitcnt lgkmcnt(0)
	global_store_dwordx2 v[2:3], v[13:14], off offset:3520
	v_add_co_u32_e32 v2, vcc, 0x1000, v2
	v_addc_co_u32_e32 v3, vcc, 0, v3, vcc
	s_movk_i32 s0, 0x6d
	v_cmp_eq_u32_e32 vcc, s0, v28
	global_store_dwordx2 v[2:3], v[15:16], off offset:304
	s_and_b64 exec, exec, vcc
	s_cbranch_execz .LBB0_24
; %bb.23:
	v_mov_b32_e32 v0, 0
	ds_read_b64 v[2:3], v0 offset:5280
	v_add_co_u32_e32 v0, vcc, 0x1000, v4
	v_addc_co_u32_e32 v1, vcc, 0, v1, vcc
	s_waitcnt lgkmcnt(0)
	global_store_dwordx2 v[0:1], v[2:3], off offset:1184
.LBB0_24:
	s_endpgm
	.section	.rodata,"a",@progbits
	.p2align	6, 0x0
	.amdhsa_kernel fft_rtc_back_len660_factors_11_6_10_wgs_110_tpt_110_halfLds_sp_ip_CI_unitstride_sbrr_R2C_dirReg
		.amdhsa_group_segment_fixed_size 0
		.amdhsa_private_segment_fixed_size 0
		.amdhsa_kernarg_size 88
		.amdhsa_user_sgpr_count 6
		.amdhsa_user_sgpr_private_segment_buffer 1
		.amdhsa_user_sgpr_dispatch_ptr 0
		.amdhsa_user_sgpr_queue_ptr 0
		.amdhsa_user_sgpr_kernarg_segment_ptr 1
		.amdhsa_user_sgpr_dispatch_id 0
		.amdhsa_user_sgpr_flat_scratch_init 0
		.amdhsa_user_sgpr_private_segment_size 0
		.amdhsa_uses_dynamic_stack 0
		.amdhsa_system_sgpr_private_segment_wavefront_offset 0
		.amdhsa_system_sgpr_workgroup_id_x 1
		.amdhsa_system_sgpr_workgroup_id_y 0
		.amdhsa_system_sgpr_workgroup_id_z 0
		.amdhsa_system_sgpr_workgroup_info 0
		.amdhsa_system_vgpr_workitem_id 0
		.amdhsa_next_free_vgpr 128
		.amdhsa_next_free_sgpr 22
		.amdhsa_reserve_vcc 1
		.amdhsa_reserve_flat_scratch 0
		.amdhsa_float_round_mode_32 0
		.amdhsa_float_round_mode_16_64 0
		.amdhsa_float_denorm_mode_32 3
		.amdhsa_float_denorm_mode_16_64 3
		.amdhsa_dx10_clamp 1
		.amdhsa_ieee_mode 1
		.amdhsa_fp16_overflow 0
		.amdhsa_exception_fp_ieee_invalid_op 0
		.amdhsa_exception_fp_denorm_src 0
		.amdhsa_exception_fp_ieee_div_zero 0
		.amdhsa_exception_fp_ieee_overflow 0
		.amdhsa_exception_fp_ieee_underflow 0
		.amdhsa_exception_fp_ieee_inexact 0
		.amdhsa_exception_int_div_zero 0
	.end_amdhsa_kernel
	.text
.Lfunc_end0:
	.size	fft_rtc_back_len660_factors_11_6_10_wgs_110_tpt_110_halfLds_sp_ip_CI_unitstride_sbrr_R2C_dirReg, .Lfunc_end0-fft_rtc_back_len660_factors_11_6_10_wgs_110_tpt_110_halfLds_sp_ip_CI_unitstride_sbrr_R2C_dirReg
                                        ; -- End function
	.section	.AMDGPU.csdata,"",@progbits
; Kernel info:
; codeLenInByte = 6228
; NumSgprs: 26
; NumVgprs: 128
; ScratchSize: 0
; MemoryBound: 0
; FloatMode: 240
; IeeeMode: 1
; LDSByteSize: 0 bytes/workgroup (compile time only)
; SGPRBlocks: 3
; VGPRBlocks: 31
; NumSGPRsForWavesPerEU: 26
; NumVGPRsForWavesPerEU: 128
; Occupancy: 2
; WaveLimiterHint : 1
; COMPUTE_PGM_RSRC2:SCRATCH_EN: 0
; COMPUTE_PGM_RSRC2:USER_SGPR: 6
; COMPUTE_PGM_RSRC2:TRAP_HANDLER: 0
; COMPUTE_PGM_RSRC2:TGID_X_EN: 1
; COMPUTE_PGM_RSRC2:TGID_Y_EN: 0
; COMPUTE_PGM_RSRC2:TGID_Z_EN: 0
; COMPUTE_PGM_RSRC2:TIDIG_COMP_CNT: 0
	.type	__hip_cuid_3b26d105f4421298,@object ; @__hip_cuid_3b26d105f4421298
	.section	.bss,"aw",@nobits
	.globl	__hip_cuid_3b26d105f4421298
__hip_cuid_3b26d105f4421298:
	.byte	0                               ; 0x0
	.size	__hip_cuid_3b26d105f4421298, 1

	.ident	"AMD clang version 19.0.0git (https://github.com/RadeonOpenCompute/llvm-project roc-6.4.0 25133 c7fe45cf4b819c5991fe208aaa96edf142730f1d)"
	.section	".note.GNU-stack","",@progbits
	.addrsig
	.addrsig_sym __hip_cuid_3b26d105f4421298
	.amdgpu_metadata
---
amdhsa.kernels:
  - .args:
      - .actual_access:  read_only
        .address_space:  global
        .offset:         0
        .size:           8
        .value_kind:     global_buffer
      - .offset:         8
        .size:           8
        .value_kind:     by_value
      - .actual_access:  read_only
        .address_space:  global
        .offset:         16
        .size:           8
        .value_kind:     global_buffer
      - .actual_access:  read_only
        .address_space:  global
        .offset:         24
        .size:           8
        .value_kind:     global_buffer
      - .offset:         32
        .size:           8
        .value_kind:     by_value
      - .actual_access:  read_only
        .address_space:  global
        .offset:         40
        .size:           8
        .value_kind:     global_buffer
      - .actual_access:  read_only
        .address_space:  global
        .offset:         48
        .size:           8
        .value_kind:     global_buffer
      - .offset:         56
        .size:           4
        .value_kind:     by_value
      - .actual_access:  read_only
        .address_space:  global
        .offset:         64
        .size:           8
        .value_kind:     global_buffer
      - .actual_access:  read_only
        .address_space:  global
        .offset:         72
        .size:           8
        .value_kind:     global_buffer
      - .address_space:  global
        .offset:         80
        .size:           8
        .value_kind:     global_buffer
    .group_segment_fixed_size: 0
    .kernarg_segment_align: 8
    .kernarg_segment_size: 88
    .language:       OpenCL C
    .language_version:
      - 2
      - 0
    .max_flat_workgroup_size: 110
    .name:           fft_rtc_back_len660_factors_11_6_10_wgs_110_tpt_110_halfLds_sp_ip_CI_unitstride_sbrr_R2C_dirReg
    .private_segment_fixed_size: 0
    .sgpr_count:     26
    .sgpr_spill_count: 0
    .symbol:         fft_rtc_back_len660_factors_11_6_10_wgs_110_tpt_110_halfLds_sp_ip_CI_unitstride_sbrr_R2C_dirReg.kd
    .uniform_work_group_size: 1
    .uses_dynamic_stack: false
    .vgpr_count:     128
    .vgpr_spill_count: 0
    .wavefront_size: 64
amdhsa.target:   amdgcn-amd-amdhsa--gfx906
amdhsa.version:
  - 1
  - 2
...

	.end_amdgpu_metadata
